;; amdgpu-corpus repo=ROCm/rocFFT kind=compiled arch=gfx1030 opt=O3
	.text
	.amdgcn_target "amdgcn-amd-amdhsa--gfx1030"
	.amdhsa_code_object_version 6
	.protected	fft_rtc_back_len1600_factors_10_16_10_wgs_200_tpt_100_halfLds_sp_ip_CI_sbrr_dirReg ; -- Begin function fft_rtc_back_len1600_factors_10_16_10_wgs_200_tpt_100_halfLds_sp_ip_CI_sbrr_dirReg
	.globl	fft_rtc_back_len1600_factors_10_16_10_wgs_200_tpt_100_halfLds_sp_ip_CI_sbrr_dirReg
	.p2align	8
	.type	fft_rtc_back_len1600_factors_10_16_10_wgs_200_tpt_100_halfLds_sp_ip_CI_sbrr_dirReg,@function
fft_rtc_back_len1600_factors_10_16_10_wgs_200_tpt_100_halfLds_sp_ip_CI_sbrr_dirReg: ; @fft_rtc_back_len1600_factors_10_16_10_wgs_200_tpt_100_halfLds_sp_ip_CI_sbrr_dirReg
; %bb.0:
	s_clause 0x2
	s_load_dwordx2 s[14:15], s[4:5], 0x18
	s_load_dwordx4 s[8:11], s[4:5], 0x0
	s_load_dwordx2 s[12:13], s[4:5], 0x50
	v_mul_u32_u24_e32 v1, 0x290, v0
	v_mov_b32_e32 v3, 0
	v_lshrrev_b32_e32 v45, 16, v1
	v_mov_b32_e32 v1, 0
	v_mov_b32_e32 v6, v3
	v_mov_b32_e32 v2, 0
	v_lshl_add_u32 v5, s6, 1, v45
	s_waitcnt lgkmcnt(0)
	s_load_dwordx2 s[2:3], s[14:15], 0x0
	v_cmp_lt_u64_e64 s0, s[10:11], 2
	s_and_b32 vcc_lo, exec_lo, s0
	s_cbranch_vccnz .LBB0_8
; %bb.1:
	s_load_dwordx2 s[0:1], s[4:5], 0x10
	v_mov_b32_e32 v1, 0
	s_add_u32 s6, s14, 8
	v_mov_b32_e32 v2, 0
	s_addc_u32 s7, s15, 0
	s_mov_b64 s[18:19], 1
	s_waitcnt lgkmcnt(0)
	s_add_u32 s16, s0, 8
	s_addc_u32 s17, s1, 0
.LBB0_2:                                ; =>This Inner Loop Header: Depth=1
	s_load_dwordx2 s[20:21], s[16:17], 0x0
                                        ; implicit-def: $vgpr7_vgpr8
	s_mov_b32 s0, exec_lo
	s_waitcnt lgkmcnt(0)
	v_or_b32_e32 v4, s21, v6
	v_cmpx_ne_u64_e32 0, v[3:4]
	s_xor_b32 s1, exec_lo, s0
	s_cbranch_execz .LBB0_4
; %bb.3:                                ;   in Loop: Header=BB0_2 Depth=1
	v_cvt_f32_u32_e32 v4, s20
	v_cvt_f32_u32_e32 v7, s21
	s_sub_u32 s0, 0, s20
	s_subb_u32 s22, 0, s21
	v_fmac_f32_e32 v4, 0x4f800000, v7
	v_rcp_f32_e32 v4, v4
	v_mul_f32_e32 v4, 0x5f7ffffc, v4
	v_mul_f32_e32 v7, 0x2f800000, v4
	v_trunc_f32_e32 v7, v7
	v_fmac_f32_e32 v4, 0xcf800000, v7
	v_cvt_u32_f32_e32 v7, v7
	v_cvt_u32_f32_e32 v4, v4
	v_mul_lo_u32 v8, s0, v7
	v_mul_hi_u32 v9, s0, v4
	v_mul_lo_u32 v10, s22, v4
	v_add_nc_u32_e32 v8, v9, v8
	v_mul_lo_u32 v9, s0, v4
	v_add_nc_u32_e32 v8, v8, v10
	v_mul_hi_u32 v10, v4, v9
	v_mul_lo_u32 v11, v4, v8
	v_mul_hi_u32 v12, v4, v8
	v_mul_hi_u32 v13, v7, v9
	v_mul_lo_u32 v9, v7, v9
	v_mul_hi_u32 v14, v7, v8
	v_mul_lo_u32 v8, v7, v8
	v_add_co_u32 v10, vcc_lo, v10, v11
	v_add_co_ci_u32_e32 v11, vcc_lo, 0, v12, vcc_lo
	v_add_co_u32 v9, vcc_lo, v10, v9
	v_add_co_ci_u32_e32 v9, vcc_lo, v11, v13, vcc_lo
	v_add_co_ci_u32_e32 v10, vcc_lo, 0, v14, vcc_lo
	v_add_co_u32 v8, vcc_lo, v9, v8
	v_add_co_ci_u32_e32 v9, vcc_lo, 0, v10, vcc_lo
	v_add_co_u32 v4, vcc_lo, v4, v8
	v_add_co_ci_u32_e32 v7, vcc_lo, v7, v9, vcc_lo
	v_mul_hi_u32 v8, s0, v4
	v_mul_lo_u32 v10, s22, v4
	v_mul_lo_u32 v9, s0, v7
	v_add_nc_u32_e32 v8, v8, v9
	v_mul_lo_u32 v9, s0, v4
	v_add_nc_u32_e32 v8, v8, v10
	v_mul_hi_u32 v10, v4, v9
	v_mul_lo_u32 v11, v4, v8
	v_mul_hi_u32 v12, v4, v8
	v_mul_hi_u32 v13, v7, v9
	v_mul_lo_u32 v9, v7, v9
	v_mul_hi_u32 v14, v7, v8
	v_mul_lo_u32 v8, v7, v8
	v_add_co_u32 v10, vcc_lo, v10, v11
	v_add_co_ci_u32_e32 v11, vcc_lo, 0, v12, vcc_lo
	v_add_co_u32 v9, vcc_lo, v10, v9
	v_add_co_ci_u32_e32 v9, vcc_lo, v11, v13, vcc_lo
	v_add_co_ci_u32_e32 v10, vcc_lo, 0, v14, vcc_lo
	v_add_co_u32 v8, vcc_lo, v9, v8
	v_add_co_ci_u32_e32 v9, vcc_lo, 0, v10, vcc_lo
	v_add_co_u32 v4, vcc_lo, v4, v8
	v_add_co_ci_u32_e32 v11, vcc_lo, v7, v9, vcc_lo
	v_mul_hi_u32 v13, v5, v4
	v_mad_u64_u32 v[9:10], null, v6, v4, 0
	v_mad_u64_u32 v[7:8], null, v5, v11, 0
	;; [unrolled: 1-line block ×3, first 2 shown]
	v_add_co_u32 v4, vcc_lo, v13, v7
	v_add_co_ci_u32_e32 v7, vcc_lo, 0, v8, vcc_lo
	v_add_co_u32 v4, vcc_lo, v4, v9
	v_add_co_ci_u32_e32 v4, vcc_lo, v7, v10, vcc_lo
	v_add_co_ci_u32_e32 v7, vcc_lo, 0, v12, vcc_lo
	v_add_co_u32 v4, vcc_lo, v4, v11
	v_add_co_ci_u32_e32 v9, vcc_lo, 0, v7, vcc_lo
	v_mul_lo_u32 v10, s21, v4
	v_mad_u64_u32 v[7:8], null, s20, v4, 0
	v_mul_lo_u32 v11, s20, v9
	v_sub_co_u32 v7, vcc_lo, v5, v7
	v_add3_u32 v8, v8, v11, v10
	v_sub_nc_u32_e32 v10, v6, v8
	v_subrev_co_ci_u32_e64 v10, s0, s21, v10, vcc_lo
	v_add_co_u32 v11, s0, v4, 2
	v_add_co_ci_u32_e64 v12, s0, 0, v9, s0
	v_sub_co_u32 v13, s0, v7, s20
	v_sub_co_ci_u32_e32 v8, vcc_lo, v6, v8, vcc_lo
	v_subrev_co_ci_u32_e64 v10, s0, 0, v10, s0
	v_cmp_le_u32_e32 vcc_lo, s20, v13
	v_cmp_eq_u32_e64 s0, s21, v8
	v_cndmask_b32_e64 v13, 0, -1, vcc_lo
	v_cmp_le_u32_e32 vcc_lo, s21, v10
	v_cndmask_b32_e64 v14, 0, -1, vcc_lo
	v_cmp_le_u32_e32 vcc_lo, s20, v7
	;; [unrolled: 2-line block ×3, first 2 shown]
	v_cndmask_b32_e64 v15, 0, -1, vcc_lo
	v_cmp_eq_u32_e32 vcc_lo, s21, v10
	v_cndmask_b32_e64 v7, v15, v7, s0
	v_cndmask_b32_e32 v10, v14, v13, vcc_lo
	v_add_co_u32 v13, vcc_lo, v4, 1
	v_add_co_ci_u32_e32 v14, vcc_lo, 0, v9, vcc_lo
	v_cmp_ne_u32_e32 vcc_lo, 0, v10
	v_cndmask_b32_e32 v8, v14, v12, vcc_lo
	v_cndmask_b32_e32 v10, v13, v11, vcc_lo
	v_cmp_ne_u32_e32 vcc_lo, 0, v7
	v_cndmask_b32_e32 v8, v9, v8, vcc_lo
	v_cndmask_b32_e32 v7, v4, v10, vcc_lo
.LBB0_4:                                ;   in Loop: Header=BB0_2 Depth=1
	s_andn2_saveexec_b32 s0, s1
	s_cbranch_execz .LBB0_6
; %bb.5:                                ;   in Loop: Header=BB0_2 Depth=1
	v_cvt_f32_u32_e32 v4, s20
	s_sub_i32 s1, 0, s20
	v_rcp_iflag_f32_e32 v4, v4
	v_mul_f32_e32 v4, 0x4f7ffffe, v4
	v_cvt_u32_f32_e32 v4, v4
	v_mul_lo_u32 v7, s1, v4
	v_mul_hi_u32 v7, v4, v7
	v_add_nc_u32_e32 v4, v4, v7
	v_mul_hi_u32 v4, v5, v4
	v_mul_lo_u32 v7, v4, s20
	v_add_nc_u32_e32 v8, 1, v4
	v_sub_nc_u32_e32 v7, v5, v7
	v_subrev_nc_u32_e32 v9, s20, v7
	v_cmp_le_u32_e32 vcc_lo, s20, v7
	v_cndmask_b32_e32 v7, v7, v9, vcc_lo
	v_cndmask_b32_e32 v4, v4, v8, vcc_lo
	v_cmp_le_u32_e32 vcc_lo, s20, v7
	v_add_nc_u32_e32 v8, 1, v4
	v_cndmask_b32_e32 v7, v4, v8, vcc_lo
	v_mov_b32_e32 v8, v3
.LBB0_6:                                ;   in Loop: Header=BB0_2 Depth=1
	s_or_b32 exec_lo, exec_lo, s0
	s_load_dwordx2 s[0:1], s[6:7], 0x0
	v_mul_lo_u32 v4, v8, s20
	v_mul_lo_u32 v11, v7, s21
	v_mad_u64_u32 v[9:10], null, v7, s20, 0
	s_add_u32 s18, s18, 1
	s_addc_u32 s19, s19, 0
	s_add_u32 s6, s6, 8
	s_addc_u32 s7, s7, 0
	s_add_u32 s16, s16, 8
	s_addc_u32 s17, s17, 0
	v_add3_u32 v4, v10, v11, v4
	v_sub_co_u32 v5, vcc_lo, v5, v9
	v_sub_co_ci_u32_e32 v4, vcc_lo, v6, v4, vcc_lo
	s_waitcnt lgkmcnt(0)
	v_mul_lo_u32 v6, s1, v5
	v_mul_lo_u32 v4, s0, v4
	v_mad_u64_u32 v[1:2], null, s0, v5, v[1:2]
	v_cmp_ge_u64_e64 s0, s[18:19], s[10:11]
	s_and_b32 vcc_lo, exec_lo, s0
	v_add3_u32 v2, v6, v2, v4
	s_cbranch_vccnz .LBB0_9
; %bb.7:                                ;   in Loop: Header=BB0_2 Depth=1
	v_mov_b32_e32 v5, v7
	v_mov_b32_e32 v6, v8
	s_branch .LBB0_2
.LBB0_8:
	v_mov_b32_e32 v8, v6
	v_mov_b32_e32 v7, v5
.LBB0_9:
	s_lshl_b64 s[0:1], s[10:11], 3
	v_mul_hi_u32 v3, 0x28f5c29, v0
	s_add_u32 s0, s14, s0
	s_addc_u32 s1, s15, s1
	s_load_dwordx2 s[4:5], s[4:5], 0x20
	s_load_dwordx2 s[0:1], s[0:1], 0x0
                                        ; implicit-def: $vgpr12
                                        ; implicit-def: $vgpr10
                                        ; implicit-def: $vgpr30
                                        ; implicit-def: $vgpr24
                                        ; implicit-def: $vgpr28
                                        ; implicit-def: $vgpr26
                                        ; implicit-def: $vgpr32
                                        ; implicit-def: $vgpr22
                                        ; implicit-def: $vgpr18
                                        ; implicit-def: $vgpr14
                                        ; implicit-def: $vgpr20
                                        ; implicit-def: $vgpr16
                                        ; implicit-def: $vgpr42
                                        ; implicit-def: $vgpr40
                                        ; implicit-def: $vgpr34
                                        ; implicit-def: $vgpr38
                                        ; implicit-def: $vgpr36
                                        ; implicit-def: $vgpr44
	v_mul_u32_u24_e32 v3, 0x64, v3
	v_sub_nc_u32_e32 v47, v0, v3
	v_add_nc_u32_e32 v48, 0xa0, v47
	v_add_nc_u32_e32 v49, 0x140, v47
	;; [unrolled: 1-line block ×3, first 2 shown]
	v_or_b32_e32 v51, 0x280, v47
	v_add_nc_u32_e32 v54, 0x320, v47
	s_waitcnt lgkmcnt(0)
	v_cmp_gt_u64_e32 vcc_lo, s[4:5], v[7:8]
	v_mul_lo_u32 v3, s0, v8
	v_mul_lo_u32 v4, s1, v7
	v_mad_u64_u32 v[0:1], null, s0, v7, v[1:2]
	v_add_nc_u32_e32 v52, 0x3c0, v47
	v_add_nc_u32_e32 v53, 0x460, v47
	v_or_b32_e32 v55, 0x500, v47
	v_add_nc_u32_e32 v56, 0x5a0, v47
	v_add3_u32 v1, v4, v1, v3
                                        ; implicit-def: $vgpr3
	v_lshlrev_b64 v[4:5], 3, v[0:1]
                                        ; implicit-def: $vgpr1
	s_and_saveexec_b32 s1, vcc_lo
	s_cbranch_execz .LBB0_13
; %bb.10:
	v_mad_u64_u32 v[0:1], null, s2, v47, 0
	v_mad_u64_u32 v[2:3], null, s2, v48, 0
	;; [unrolled: 1-line block ×4, first 2 shown]
	v_add_co_u32 v6, s0, s12, v4
	v_mad_u64_u32 v[12:13], null, s3, v47, v[1:2]
	v_mad_u64_u32 v[13:14], null, s3, v48, v[3:4]
	;; [unrolled: 1-line block ×4, first 2 shown]
	v_mov_b32_e32 v1, v12
	v_mad_u64_u32 v[11:12], null, s3, v50, v[11:12]
	v_mov_b32_e32 v3, v13
	v_mov_b32_e32 v9, v14
	v_lshlrev_b64 v[0:1], 3, v[0:1]
	v_mov_b32_e32 v12, v16
	v_add_co_ci_u32_e64 v7, s0, s13, v5, s0
	v_lshlrev_b64 v[2:3], 3, v[2:3]
	v_lshlrev_b64 v[8:9], 3, v[8:9]
	v_add_co_u32 v0, s0, v6, v0
	v_mad_u64_u32 v[12:13], null, s3, v51, v[12:13]
	v_mad_u64_u32 v[13:14], null, s2, v54, 0
	v_add_co_ci_u32_e64 v1, s0, v7, v1, s0
	v_add_co_u32 v2, s0, v6, v2
	v_lshlrev_b64 v[10:11], 3, v[10:11]
	v_add_co_ci_u32_e64 v3, s0, v7, v3, s0
	v_add_co_u32 v8, s0, v6, v8
	v_add_co_ci_u32_e64 v9, s0, v7, v9, s0
	v_add_co_u32 v17, s0, v6, v10
	v_mov_b32_e32 v10, v14
	v_add_co_ci_u32_e64 v18, s0, v7, v11, s0
	v_mov_b32_e32 v16, v12
	v_mad_u64_u32 v[19:20], null, s2, v52, 0
	v_mad_u64_u32 v[21:22], null, s3, v54, v[10:11]
	s_clause 0x3
	global_load_dwordx2 v[0:1], v[0:1], off
	global_load_dwordx2 v[2:3], v[2:3], off
	global_load_dwordx2 v[11:12], v[8:9], off
	global_load_dwordx2 v[9:10], v[17:18], off
	v_mad_u64_u32 v[22:23], null, s2, v53, 0
	v_mad_u64_u32 v[24:25], null, s2, v55, 0
	v_mov_b32_e32 v8, v20
	v_mad_u64_u32 v[26:27], null, s2, v56, 0
	v_mov_b32_e32 v14, v21
	v_mov_b32_e32 v17, v23
	v_lshlrev_b64 v[15:16], 3, v[15:16]
	s_mov_b32 s4, exec_lo
                                        ; implicit-def: $vgpr43
                                        ; implicit-def: $vgpr35
                                        ; implicit-def: $vgpr37
                                        ; implicit-def: $vgpr33
                                        ; implicit-def: $vgpr39
                                        ; implicit-def: $vgpr41
	v_lshlrev_b64 v[13:14], 3, v[13:14]
	v_mad_u64_u32 v[17:18], null, s3, v53, v[17:18]
	v_add_co_u32 v15, s0, v6, v15
	v_add_co_ci_u32_e64 v16, s0, v7, v16, s0
	v_add_co_u32 v13, s0, v6, v13
	v_mov_b32_e32 v23, v17
	v_add_co_ci_u32_e64 v14, s0, v7, v14, s0
	s_waitcnt vmcnt(0)
	v_mad_u64_u32 v[20:21], null, s3, v52, v[8:9]
	v_mov_b32_e32 v8, v25
	v_mad_u64_u32 v[17:18], null, s3, v55, v[8:9]
	v_mov_b32_e32 v8, v27
	v_lshlrev_b64 v[18:19], 3, v[19:20]
	v_mad_u64_u32 v[20:21], null, s3, v56, v[8:9]
	v_lshlrev_b64 v[21:22], 3, v[22:23]
	v_mov_b32_e32 v25, v17
	v_add_co_u32 v17, s0, v6, v18
	v_add_co_ci_u32_e64 v18, s0, v7, v19, s0
	v_mov_b32_e32 v27, v20
	v_lshlrev_b64 v[23:24], 3, v[24:25]
	v_add_co_u32 v19, s0, v6, v21
	v_add_co_ci_u32_e64 v20, s0, v7, v22, s0
	v_lshlrev_b64 v[21:22], 3, v[26:27]
	v_add_co_u32 v31, s0, v6, v23
	v_add_co_ci_u32_e64 v32, s0, v7, v24, s0
	v_add_co_u32 v21, s0, v6, v21
	v_add_co_ci_u32_e64 v22, s0, v7, v22, s0
	s_clause 0x5
	global_load_dwordx2 v[29:30], v[15:16], off
	global_load_dwordx2 v[23:24], v[13:14], off
	;; [unrolled: 1-line block ×6, first 2 shown]
                                        ; implicit-def: $vgpr15
                                        ; implicit-def: $vgpr19
                                        ; implicit-def: $vgpr13
                                        ; implicit-def: $vgpr17
	v_cmpx_gt_u32_e32 60, v47
	s_cbranch_execz .LBB0_12
; %bb.11:
	v_add_nc_u32_e32 v33, 0x64, v47
	v_add_nc_u32_e32 v35, 0x104, v47
	;; [unrolled: 1-line block ×5, first 2 shown]
	v_mad_u64_u32 v[13:14], null, s2, v33, 0
	v_mad_u64_u32 v[15:16], null, s2, v35, 0
	;; [unrolled: 1-line block ×4, first 2 shown]
	v_mov_b32_e32 v8, v14
	v_add_nc_u32_e32 v46, 0x424, v47
	v_mov_b32_e32 v14, v16
	v_add_nc_u32_e32 v59, 0x4c4, v47
	v_mad_u64_u32 v[33:34], null, s3, v33, v[8:9]
	v_mov_b32_e32 v8, v18
	v_mov_b32_e32 v16, v20
	v_mad_u64_u32 v[34:35], null, s3, v35, v[14:15]
	v_mad_u64_u32 v[41:42], null, s2, v46, 0
	;; [unrolled: 1-line block ×4, first 2 shown]
	v_add_nc_u32_e32 v37, 0x2e4, v47
	v_mov_b32_e32 v14, v33
	v_mov_b32_e32 v16, v34
	v_mad_u64_u32 v[57:58], null, s2, v59, 0
	v_mad_u64_u32 v[33:34], null, s2, v37, 0
	v_lshlrev_b64 v[13:14], 3, v[13:14]
	v_mov_b32_e32 v18, v35
	v_lshlrev_b64 v[15:16], 3, v[15:16]
	v_mov_b32_e32 v20, v36
	v_mov_b32_e32 v8, v34
	v_add_co_u32 v13, s0, v6, v13
	v_lshlrev_b64 v[17:18], 3, v[17:18]
	v_add_co_ci_u32_e64 v14, s0, v7, v14, s0
	v_mad_u64_u32 v[34:35], null, s3, v37, v[8:9]
	v_mad_u64_u32 v[35:36], null, s2, v43, 0
	v_add_co_u32 v15, s0, v6, v15
	v_lshlrev_b64 v[19:20], 3, v[19:20]
	v_add_co_ci_u32_e64 v16, s0, v7, v16, s0
	v_add_co_u32 v37, s0, v6, v17
	v_mov_b32_e32 v8, v36
	v_add_co_ci_u32_e64 v38, s0, v7, v18, s0
	v_add_co_u32 v39, s0, v6, v19
	v_add_co_ci_u32_e64 v40, s0, v7, v20, s0
	v_mad_u64_u32 v[43:44], null, s3, v43, v[8:9]
	v_mov_b32_e32 v8, v42
	s_clause 0x3
	global_load_dwordx2 v[17:18], v[13:14], off
	global_load_dwordx2 v[13:14], v[15:16], off
	;; [unrolled: 1-line block ×4, first 2 shown]
	v_add_nc_u32_e32 v40, 0x564, v47
	v_lshlrev_b64 v[33:34], 3, v[33:34]
	v_mad_u64_u32 v[37:38], null, s3, v46, v[8:9]
	v_mov_b32_e32 v8, v58
	v_add_nc_u32_e32 v46, 0x604, v47
	v_mad_u64_u32 v[38:39], null, s2, v40, 0
	v_mov_b32_e32 v36, v43
	v_mad_u64_u32 v[43:44], null, s3, v59, v[8:9]
	v_mad_u64_u32 v[59:60], null, s2, v46, 0
	v_mov_b32_e32 v42, v37
	v_mov_b32_e32 v8, v39
	v_lshlrev_b64 v[35:36], 3, v[35:36]
	v_add_co_u32 v33, s0, v6, v33
	v_mov_b32_e32 v58, v43
	v_mad_u64_u32 v[39:40], null, s3, v40, v[8:9]
	v_mov_b32_e32 v8, v60
	v_lshlrev_b64 v[40:41], 3, v[41:42]
	v_add_co_ci_u32_e64 v34, s0, v7, v34, s0
	v_add_co_u32 v35, s0, v6, v35
	v_mad_u64_u32 v[42:43], null, s3, v46, v[8:9]
	v_lshlrev_b64 v[43:44], 3, v[57:58]
	v_add_co_ci_u32_e64 v36, s0, v7, v36, s0
	v_add_co_u32 v57, s0, v6, v40
	v_lshlrev_b64 v[37:38], 3, v[38:39]
	v_mov_b32_e32 v60, v42
	v_add_co_ci_u32_e64 v58, s0, v7, v41, s0
	v_add_co_u32 v39, s0, v6, v43
	v_lshlrev_b64 v[41:42], 3, v[59:60]
	v_add_co_ci_u32_e64 v40, s0, v7, v44, s0
	v_add_co_u32 v59, s0, v6, v37
	v_add_co_ci_u32_e64 v60, s0, v7, v38, s0
	v_add_co_u32 v6, s0, v6, v41
	v_add_co_ci_u32_e64 v7, s0, v7, v42, s0
	s_clause 0x5
	global_load_dwordx2 v[41:42], v[33:34], off
	global_load_dwordx2 v[43:44], v[35:36], off
	;; [unrolled: 1-line block ×6, first 2 shown]
.LBB0_12:
	s_or_b32 exec_lo, exec_lo, s4
.LBB0_13:
	s_or_b32 exec_lo, exec_lo, s1
	s_waitcnt vmcnt(3)
	v_add_f32_e32 v6, v29, v27
	s_waitcnt vmcnt(1)
	v_add_f32_e32 v8, v11, v31
	v_add_f32_e32 v7, v0, v11
	v_sub_f32_e32 v62, v30, v28
	v_sub_f32_e32 v46, v11, v29
	v_fma_f32 v6, -0.5, v6, v0
	v_sub_f32_e32 v57, v31, v27
	v_fmac_f32_e32 v0, -0.5, v8
	v_sub_f32_e32 v8, v12, v32
	v_sub_f32_e32 v58, v27, v31
	s_waitcnt vmcnt(0)
	v_add_f32_e32 v59, v9, v21
	v_add_f32_e32 v63, v46, v57
	v_fmamk_f32 v64, v62, 0x3f737871, v0
	v_sub_f32_e32 v57, v29, v11
	v_add_f32_e32 v46, v23, v25
	v_fmac_f32_e32 v0, 0xbf737871, v62
	v_add_f32_e32 v65, v2, v9
	v_sub_f32_e32 v66, v24, v26
	v_fmac_f32_e32 v64, 0xbf167918, v8
	v_fma_f32 v46, -0.5, v46, v2
	v_fmac_f32_e32 v2, -0.5, v59
	v_add_f32_e32 v58, v57, v58
	v_fmac_f32_e32 v0, 0x3f167918, v8
	v_sub_f32_e32 v59, v23, v9
	v_sub_f32_e32 v60, v25, v21
	;; [unrolled: 1-line block ×3, first 2 shown]
	v_fmamk_f32 v57, v66, 0x3f737871, v2
	v_fmac_f32_e32 v2, 0xbf737871, v66
	v_sub_f32_e32 v61, v9, v23
	v_sub_f32_e32 v68, v21, v25
	v_add_f32_e32 v59, v59, v60
	v_fmac_f32_e32 v64, 0x3e9e377a, v58
	v_fmac_f32_e32 v0, 0x3e9e377a, v58
	v_add_f32_e32 v58, v10, v22
	v_sub_f32_e32 v60, v24, v10
	v_sub_f32_e32 v70, v26, v22
	v_add_f32_e32 v71, v24, v26
	v_fmac_f32_e32 v57, 0xbf167918, v67
	v_fmac_f32_e32 v2, 0x3f167918, v67
	v_add_f32_e32 v68, v61, v68
	v_sub_f32_e32 v69, v23, v25
	v_sub_f32_e32 v61, v10, v24
	v_fma_f32 v58, -0.5, v58, v3
	v_sub_f32_e32 v9, v9, v21
	v_sub_f32_e32 v72, v22, v26
	v_add_f32_e32 v70, v60, v70
	v_fma_f32 v60, -0.5, v71, v3
	v_fmac_f32_e32 v57, 0x3e9e377a, v59
	v_fmac_f32_e32 v2, 0x3e9e377a, v59
	v_fmamk_f32 v59, v69, 0xbf737871, v58
	v_fmac_f32_e32 v58, 0x3f737871, v69
	v_add_f32_e32 v71, v61, v72
	v_fmamk_f32 v61, v9, 0x3f737871, v60
	v_and_b32_e32 v72, 1, v45
	v_fmac_f32_e32 v59, 0x3f167918, v9
	v_fmac_f32_e32 v58, 0xbf167918, v9
	v_fmamk_f32 v45, v67, 0xbf737871, v46
	v_fmac_f32_e32 v61, 0x3f167918, v69
	v_add_f32_e32 v23, v65, v23
	v_fmac_f32_e32 v59, 0x3e9e377a, v70
	v_fmac_f32_e32 v58, 0x3e9e377a, v70
	v_fmamk_f32 v70, v8, 0xbf737871, v6
	v_fmac_f32_e32 v45, 0xbf167918, v66
	v_fmac_f32_e32 v61, 0x3e9e377a, v71
	v_add_f32_e32 v7, v7, v29
	v_add_f32_e32 v23, v23, v25
	v_fmac_f32_e32 v70, 0xbf167918, v62
	v_fmac_f32_e32 v45, 0x3e9e377a, v68
	v_mul_f32_e32 v25, 0xbf167918, v61
	v_mul_f32_e32 v65, 0xbf737871, v59
	v_fmac_f32_e32 v6, 0x3f737871, v8
	v_add_f32_e32 v7, v7, v27
	v_fmac_f32_e32 v70, 0x3e9e377a, v63
	v_fmac_f32_e32 v25, 0x3f4f1bbd, v45
	;; [unrolled: 1-line block ×5, first 2 shown]
	v_add_f32_e32 v8, v41, v35
	v_add_f32_e32 v7, v7, v31
	v_mul_f32_e32 v73, 0xbf737871, v58
	v_add_f32_e32 v74, v23, v21
	v_add_f32_e32 v78, v70, v25
	;; [unrolled: 1-line block ×3, first 2 shown]
	v_fmac_f32_e32 v60, 0xbf167918, v69
	v_fmac_f32_e32 v6, 0x3e9e377a, v63
	v_fma_f32 v69, -0.5, v8, v17
	v_sub_f32_e32 v8, v20, v34
	v_sub_f32_e32 v81, v70, v25
	;; [unrolled: 1-line block ×5, first 2 shown]
	v_add_f32_e32 v64, v19, v33
	v_fmac_f32_e32 v73, 0xbe9e377a, v2
	v_add_f32_e32 v77, v7, v74
	v_fmac_f32_e32 v60, 0x3e9e377a, v71
	v_sub_f32_e32 v84, v7, v74
	v_fmamk_f32 v70, v8, 0xbf737871, v69
	v_sub_f32_e32 v7, v42, v36
	v_fmac_f32_e32 v69, 0x3f737871, v8
	v_add_f32_e32 v25, v25, v63
	v_fma_f32 v71, -0.5, v64, v17
	v_sub_f32_e32 v63, v41, v19
	v_sub_f32_e32 v64, v35, v33
	v_add_f32_e32 v80, v0, v73
	v_cmp_eq_u32_e64 s0, 1, v72
	v_fmac_f32_e32 v70, 0xbf167918, v7
	v_fmac_f32_e32 v69, 0x3f167918, v7
	v_sub_f32_e32 v85, v0, v73
	v_fmamk_f32 v72, v7, 0x3f737871, v71
	v_add_f32_e32 v86, v63, v64
	v_fmac_f32_e32 v71, 0xbf737871, v7
	v_add_f32_e32 v0, v37, v43
	v_add_f32_e32 v63, v15, v39
	v_fmac_f32_e32 v46, 0x3f737871, v67
	v_fmac_f32_e32 v70, 0x3e9e377a, v25
	v_fmac_f32_e32 v69, 0x3e9e377a, v25
	v_fmac_f32_e32 v72, 0xbf167918, v8
	v_sub_f32_e32 v7, v15, v43
	v_sub_f32_e32 v25, v39, v37
	v_fma_f32 v0, -0.5, v0, v13
	v_sub_f32_e32 v65, v16, v40
	v_fmac_f32_e32 v71, 0x3f167918, v8
	v_fma_f32 v63, -0.5, v63, v13
	v_sub_f32_e32 v8, v44, v38
	v_fmac_f32_e32 v46, 0x3f167918, v66
	v_add_f32_e32 v7, v25, v7
	v_fmamk_f32 v25, v65, 0xbf737871, v0
	v_fmac_f32_e32 v0, 0x3f737871, v65
	v_sub_f32_e32 v66, v43, v15
	v_sub_f32_e32 v67, v37, v39
	v_fmamk_f32 v64, v8, 0x3f737871, v63
	v_fmac_f32_e32 v63, 0xbf737871, v8
	v_fmac_f32_e32 v25, 0xbf167918, v8
	;; [unrolled: 1-line block ×3, first 2 shown]
	v_add_f32_e32 v8, v67, v66
	v_fmac_f32_e32 v64, 0xbf167918, v65
	v_fmac_f32_e32 v63, 0x3f167918, v65
	v_add_f32_e32 v65, v38, v44
	v_add_f32_e32 v67, v16, v40
	v_fmac_f32_e32 v46, 0x3e9e377a, v68
	v_fmac_f32_e32 v25, 0x3e9e377a, v7
	v_sub_f32_e32 v66, v16, v44
	v_sub_f32_e32 v68, v40, v38
	v_fma_f32 v65, -0.5, v65, v14
	v_sub_f32_e32 v73, v15, v39
	v_fmac_f32_e32 v0, 0x3e9e377a, v7
	v_fma_f32 v67, -0.5, v67, v14
	v_sub_f32_e32 v7, v43, v37
	v_add_f32_e32 v74, v68, v66
	v_fmamk_f32 v66, v73, 0x3f737871, v65
	v_sub_f32_e32 v75, v44, v16
	v_sub_f32_e32 v76, v38, v40
	v_fmamk_f32 v68, v7, 0xbf737871, v67
	v_fmac_f32_e32 v67, 0x3f737871, v7
	v_fmac_f32_e32 v65, 0xbf737871, v73
	;; [unrolled: 1-line block ×3, first 2 shown]
	v_add_f32_e32 v75, v76, v75
	v_fmac_f32_e32 v68, 0x3f167918, v73
	v_fmac_f32_e32 v67, 0xbf167918, v73
	;; [unrolled: 1-line block ×3, first 2 shown]
	v_mul_u32_u24_e32 v9, 10, v47
	v_fmac_f32_e32 v66, 0x3e9e377a, v74
	v_fmac_f32_e32 v68, 0x3e9e377a, v75
	;; [unrolled: 1-line block ×4, first 2 shown]
	v_lshl_add_u32 v21, v9, 2, 0
	v_mul_f32_e32 v9, 0xbf167918, v60
	v_fmac_f32_e32 v64, 0x3e9e377a, v8
	v_fmac_f32_e32 v63, 0x3e9e377a, v8
	v_mul_f32_e32 v73, 0xbf167918, v66
	v_mul_f32_e32 v74, 0xbf737871, v68
	;; [unrolled: 1-line block ×4, first 2 shown]
	v_cndmask_b32_e64 v23, 0, 0x640, s0
	v_fmac_f32_e32 v9, 0xbf4f1bbd, v46
	v_fmac_f32_e32 v72, 0x3e9e377a, v86
	;; [unrolled: 1-line block ×7, first 2 shown]
	v_lshl_add_u32 v62, v23, 2, v21
	v_add_f32_e32 v83, v6, v9
	v_sub_f32_e32 v86, v6, v9
	v_sub_f32_e32 v8, v70, v73
	;; [unrolled: 1-line block ×5, first 2 shown]
	v_cmp_gt_u32_e64 s0, 60, v47
	ds_write2_b64 v62, v[77:78], v[79:80] offset1:1
	ds_write2_b64 v62, v[83:84], v[81:82] offset0:2 offset1:3
	ds_write_b64 v62, v[85:86] offset:32
	s_and_saveexec_b32 s1, s0
	s_cbranch_execz .LBB0_15
; %bb.14:
	v_add_f32_e32 v17, v17, v19
	v_add_f32_e32 v13, v13, v15
	;; [unrolled: 1-line block ×7, first 2 shown]
	v_add_nc_u32_e32 v17, 0xfa0, v62
	v_add_f32_e32 v69, v69, v76
	v_add_f32_e32 v15, v15, v35
	v_add_f32_e32 v13, v37, v13
	v_add_nc_u32_e32 v37, 0xfb0, v62
	v_add_f32_e32 v15, v33, v15
	v_add_f32_e32 v13, v39, v13
	;; [unrolled: 1-line block ×3, first 2 shown]
	v_sub_f32_e32 v70, v15, v13
	ds_write2_b64 v17, v[71:72], v[74:75] offset1:1
	ds_write2_b64 v37, v[69:70], v[8:9] offset1:1
	ds_write_b64 v62, v[6:7] offset:4032
.LBB0_15:
	s_or_b32 exec_lo, exec_lo, s1
	v_add_f32_e32 v15, v30, v28
	v_add_f32_e32 v13, v1, v12
	v_sub_f32_e32 v11, v11, v31
	v_sub_f32_e32 v17, v12, v30
	;; [unrolled: 1-line block ×3, first 2 shown]
	v_fma_f32 v39, -0.5, v15, v1
	v_add_f32_e32 v15, v12, v32
	v_sub_f32_e32 v27, v29, v27
	v_sub_f32_e32 v12, v30, v12
	v_add_f32_e32 v3, v3, v10
	v_sub_f32_e32 v10, v28, v32
	v_fmac_f32_e32 v1, -0.5, v15
	v_add_f32_e32 v15, v17, v31
	v_add_f32_e32 v13, v13, v30
	v_fmamk_f32 v29, v11, 0x3f737871, v39
	v_add_f32_e32 v3, v3, v24
	v_fmamk_f32 v17, v27, 0xbf737871, v1
	v_fmac_f32_e32 v1, 0x3f737871, v27
	v_add_f32_e32 v10, v12, v10
	v_add_f32_e32 v13, v13, v28
	v_fmac_f32_e32 v29, 0x3f167918, v27
	v_fmac_f32_e32 v17, 0x3f167918, v11
	v_fmac_f32_e32 v1, 0xbf167918, v11
	v_add_f32_e32 v3, v3, v26
	v_mul_f32_e32 v12, 0x3e9e377a, v58
	v_fmac_f32_e32 v39, 0xbf737871, v11
	v_fmac_f32_e32 v17, 0x3e9e377a, v10
	v_fmac_f32_e32 v1, 0x3e9e377a, v10
	v_mul_f32_e32 v10, 0x3f4f1bbd, v61
	v_add_f32_e32 v13, v13, v32
	v_fmac_f32_e32 v29, 0x3e9e377a, v15
	v_mul_f32_e32 v11, 0x3f737871, v57
	v_add_f32_e32 v3, v3, v22
	v_fmac_f32_e32 v10, 0x3f167918, v45
	v_fma_f32 v12, 0x3f737871, v2, -v12
	v_add_f32_e32 v2, v42, v36
	v_fmac_f32_e32 v11, 0x3e9e377a, v59
	v_add_f32_e32 v70, v13, v3
	v_add_f32_e32 v71, v29, v10
	v_sub_f32_e32 v75, v13, v3
	v_sub_f32_e32 v76, v29, v10
	v_fma_f32 v2, -0.5, v2, v18
	v_add_f32_e32 v3, v20, v34
	v_sub_f32_e32 v10, v19, v33
	v_fmac_f32_e32 v39, 0xbf167918, v27
	v_add_f32_e32 v72, v17, v11
	v_add_f32_e32 v73, v1, v12
	v_sub_f32_e32 v77, v17, v11
	v_sub_f32_e32 v78, v1, v12
	;; [unrolled: 1-line block ×3, first 2 shown]
	v_fma_f32 v1, -0.5, v3, v18
	v_fmamk_f32 v3, v10, 0x3f737871, v2
	v_fmac_f32_e32 v2, 0xbf737871, v10
	v_fmac_f32_e32 v39, 0x3e9e377a, v15
	v_mul_f32_e32 v15, 0x3f4f1bbd, v60
	v_fmamk_f32 v60, v11, 0xbf737871, v1
	v_fmac_f32_e32 v3, 0x3f167918, v11
	v_fmac_f32_e32 v2, 0xbf167918, v11
	;; [unrolled: 1-line block ×3, first 2 shown]
	v_lshlrev_b32_e32 v35, 2, v23
	v_mul_i32_i24_e32 v11, 0xffffffdc, v47
	v_fma_f32 v79, 0x3f167918, v46, -v15
	v_sub_f32_e32 v12, v20, v42
	v_sub_f32_e32 v13, v34, v36
	;; [unrolled: 1-line block ×3, first 2 shown]
	v_add3_u32 v41, v21, v11, v35
	v_sub_f32_e32 v17, v36, v34
	v_fmac_f32_e32 v60, 0x3f167918, v10
	v_fmac_f32_e32 v1, 0xbf167918, v10
	v_lshlrev_b32_e32 v10, 2, v47
	v_add_nc_u32_e32 v37, 0x600, v41
	v_add_f32_e32 v12, v12, v13
	v_add_f32_e32 v13, v15, v17
	v_add_nc_u32_e32 v17, 0x400, v41
	v_add_nc_u32_e32 v57, 0xa00, v41
	;; [unrolled: 1-line block ×5, first 2 shown]
	v_mul_f32_e32 v69, 0x3f167918, v25
	s_waitcnt lgkmcnt(0)
	s_barrier
	buffer_gl0_inv
	v_add3_u32 v43, 0, v35, v10
	ds_read2_b32 v[31:32], v41 offset0:100 offset1:200
	ds_read2_b32 v[25:26], v17 offset0:44 offset1:144
	;; [unrolled: 1-line block ×7, first 2 shown]
	ds_read_b32 v15, v43
	ds_read_b32 v33, v41 offset:6000
	v_mul_f32_e32 v61, 0x3e9e377a, v68
	v_mul_f32_e32 v10, 0x3e9e377a, v67
	v_mul_f32_e32 v11, 0x3f4f1bbd, v65
	v_fmac_f32_e32 v3, 0x3e9e377a, v12
	v_fmac_f32_e32 v2, 0x3e9e377a, v12
	;; [unrolled: 1-line block ×6, first 2 shown]
	v_fma_f32 v63, 0x3f737871, v63, -v10
	v_fma_f32 v0, 0x3f167918, v0, -v11
	v_add_f32_e32 v74, v39, v79
	v_sub_f32_e32 v79, v39, v79
	v_sub_f32_e32 v12, v3, v69
	;; [unrolled: 1-line block ×5, first 2 shown]
	v_add_nc_u32_e32 v39, 0x64, v47
	s_waitcnt lgkmcnt(0)
	s_barrier
	buffer_gl0_inv
	ds_write2_b64 v62, v[70:71], v[72:73] offset1:1
	ds_write2_b64 v62, v[74:75], v[76:77] offset0:2 offset1:3
	ds_write_b64 v62, v[78:79] offset:32
	s_and_saveexec_b32 s1, s0
	s_cbranch_execz .LBB0_17
; %bb.16:
	v_add_f32_e32 v18, v18, v20
	v_add_f32_e32 v14, v14, v16
	;; [unrolled: 1-line block ×7, first 2 shown]
	v_mul_u32_u24_e32 v18, 10, v39
	v_add_f32_e32 v0, v2, v0
	v_add_f32_e32 v16, v16, v36
	;; [unrolled: 1-line block ×3, first 2 shown]
	v_lshlrev_b32_e32 v18, 2, v18
	v_add_f32_e32 v16, v34, v16
	v_add_f32_e32 v14, v40, v14
	v_add3_u32 v18, 0, v18, v35
	v_add_f32_e32 v2, v16, v14
	v_sub_f32_e32 v1, v16, v14
	ds_write2_b64 v18, v[2:3], v[60:61] offset1:1
	ds_write2_b64 v18, v[0:1], v[12:13] offset0:2 offset1:3
	ds_write_b64 v18, v[10:11] offset:32
.LBB0_17:
	s_or_b32 exec_lo, exec_lo, s1
	v_and_b32_e32 v0, 0xff, v47
	v_mov_b32_e32 v1, 15
	s_waitcnt lgkmcnt(0)
	s_barrier
	buffer_gl0_inv
	v_mul_lo_u16 v0, 0xcd, v0
	v_add_nc_u32_e32 v34, 0x200, v41
	v_add_nc_u32_e32 v36, 0x700, v41
	;; [unrolled: 1-line block ×3, first 2 shown]
	v_lshrrev_b16 v14, 11, v0
	v_mul_lo_u16 v0, v14, 10
	v_sub_nc_u16 v16, v47, v0
	v_mul_u32_u24_sdwa v0, v16, v1 dst_sel:DWORD dst_unused:UNUSED_PAD src0_sel:BYTE_0 src1_sel:DWORD
	v_lshlrev_b32_e32 v18, 3, v0
	s_clause 0x7
	global_load_dwordx4 v[60:63], v18, s[8:9]
	global_load_dwordx4 v[64:67], v18, s[8:9] offset:16
	global_load_dwordx4 v[68:71], v18, s[8:9] offset:32
	;; [unrolled: 1-line block ×6, first 2 shown]
	global_load_dwordx2 v[84:85], v18, s[8:9] offset:112
	v_mov_b32_e32 v18, 0xa0
	ds_read2_b32 v[86:87], v41 offset0:100 offset1:200
	ds_read2_b32 v[88:89], v17 offset0:44 offset1:144
	;; [unrolled: 1-line block ×3, first 2 shown]
	v_mul_u32_u24_sdwa v14, v14, v18 dst_sel:DWORD dst_unused:UNUSED_PAD src0_sel:WORD_0 src1_sel:DWORD
	ds_read2_b32 v[17:18], v57 offset0:60 offset1:160
	ds_read2_b32 v[92:93], v19 offset0:132 offset1:232
	;; [unrolled: 1-line block ×4, first 2 shown]
	v_or_b32_sdwa v14, v14, v16 dst_sel:DWORD dst_unused:UNUSED_PAD src0_sel:DWORD src1_sel:BYTE_0
	ds_read_b32 v20, v43
	ds_read_b32 v16, v41 offset:6000
	s_waitcnt vmcnt(0) lgkmcnt(0)
	s_barrier
	buffer_gl0_inv
	v_lshlrev_b32_e32 v14, 2, v14
	v_add3_u32 v35, 0, v14, v35
	v_mul_f32_e32 v14, v86, v61
	v_mul_f32_e32 v37, v31, v61
	;; [unrolled: 1-line block ×29, first 2 shown]
	v_fmac_f32_e32 v14, v31, v60
	v_fmac_f32_e32 v38, v32, v62
	v_fma_f32 v31, v86, v60, -v37
	v_fma_f32 v32, v87, v62, -v40
	v_fmac_f32_e32 v44, v25, v64
	v_fmac_f32_e32 v61, v26, v66
	v_fma_f32 v37, v89, v66, -v63
	v_fmac_f32_e32 v65, v45, v68
	v_fmac_f32_e32 v69, v46, v70
	v_fma_f32 v26, v90, v68, -v67
	v_fma_f32 v40, v91, v70, -v71
	v_fmac_f32_e32 v96, v29, v0
	v_fma_f32 v0, v17, v0, -v1
	v_fmac_f32_e32 v97, v30, v2
	v_fmac_f32_e32 v98, v27, v72
	v_fma_f32 v1, v92, v72, -v73
	v_fmac_f32_e32 v99, v28, v74
	v_fma_f32 v17, v93, v74, -v75
	v_fmac_f32_e32 v100, v23, v76
	v_fmac_f32_e32 v101, v24, v78
	v_fma_f32 v24, v58, v78, -v79
	v_fmac_f32_e32 v102, v21, v80
	v_fma_f32 v21, v94, v80, -v81
	;; [unrolled: 2-line block ×3, first 2 shown]
	v_fma_f32 v16, v16, v84, -v85
	v_fma_f32 v25, v88, v64, -v59
	;; [unrolled: 1-line block ×3, first 2 shown]
	v_fmac_f32_e32 v104, v33, v84
	v_sub_f32_e32 v27, v15, v97
	v_sub_f32_e32 v58, v61, v101
	;; [unrolled: 1-line block ×15, first 2 shown]
	v_fma_f32 v15, v15, 2.0, -v27
	v_fma_f32 v57, v61, 2.0, -v58
	;; [unrolled: 1-line block ×10, first 2 shown]
	v_add_f32_e32 v65, v27, v60
	v_add_f32_e32 v66, v24, v22
	v_add_f32_e32 v22, v29, v21
	v_add_f32_e32 v16, v45, v16
	v_fma_f32 v14, v14, 2.0, -v29
	v_fma_f32 v25, v25, 2.0, -v23
	;; [unrolled: 1-line block ×3, first 2 shown]
	v_sub_f32_e32 v67, v17, v28
	v_sub_f32_e32 v28, v1, v33
	;; [unrolled: 1-line block ×3, first 2 shown]
	v_fma_f32 v61, v44, 2.0, -v45
	v_sub_f32_e32 v57, v15, v57
	v_fma_f32 v27, v27, 2.0, -v65
	v_sub_f32_e32 v44, v38, v32
	v_sub_f32_e32 v63, v62, v40
	v_fma_f32 v69, v24, 2.0, -v66
	v_sub_f32_e32 v24, v59, v26
	v_fma_f32 v26, v29, 2.0, -v22
	v_fma_f32 v40, v45, 2.0, -v16
	;; [unrolled: 1-line block ×3, first 2 shown]
	v_sub_f32_e32 v17, v14, v31
	v_fma_f32 v1, v1, 2.0, -v28
	v_sub_f32_e32 v0, v25, v0
	v_fma_f32 v23, v23, 2.0, -v46
	v_fmamk_f32 v71, v66, 0x3f3504f3, v65
	v_fmamk_f32 v31, v16, 0x3f3504f3, v22
	v_sub_f32_e32 v29, v61, v64
	v_fma_f32 v45, v15, 2.0, -v57
	v_fma_f32 v15, v38, 2.0, -v44
	v_fmamk_f32 v72, v69, 0xbf3504f3, v27
	v_fmamk_f32 v32, v40, 0xbf3504f3, v26
	v_fmamk_f32 v21, v46, 0x3f3504f3, v28
	v_add_f32_e32 v73, v57, v63
	v_fmac_f32_e32 v71, 0x3f3504f3, v67
	v_fmamk_f32 v33, v23, 0xbf3504f3, v1
	v_add_f32_e32 v74, v17, v0
	v_fmac_f32_e32 v31, 0x3f3504f3, v46
	v_fma_f32 v38, v14, 2.0, -v17
	v_fma_f32 v14, v61, 2.0, -v29
	v_sub_f32_e32 v75, v24, v29
	v_sub_f32_e32 v29, v45, v15
	v_fmac_f32_e32 v72, 0x3f3504f3, v70
	v_fmac_f32_e32 v32, 0x3f3504f3, v23
	v_fma_f32 v64, v59, 2.0, -v24
	v_fma_f32 v25, v25, 2.0, -v0
	v_fmac_f32_e32 v21, 0xbf3504f3, v16
	v_fma_f32 v76, v57, 2.0, -v73
	v_fma_f32 v65, v65, 2.0, -v71
	;; [unrolled: 3-line block ×3, first 2 shown]
	v_sub_f32_e32 v57, v38, v14
	v_fma_f32 v22, v45, 2.0, -v29
	v_fma_f32 v23, v27, 2.0, -v72
	;; [unrolled: 1-line block ×3, first 2 shown]
	v_fmamk_f32 v14, v74, 0x3f3504f3, v73
	v_fmamk_f32 v15, v31, 0x3f6c835e, v71
	v_sub_f32_e32 v68, v64, v25
	v_fma_f32 v78, v24, 2.0, -v75
	v_fma_f32 v59, v28, 2.0, -v21
	;; [unrolled: 1-line block ×3, first 2 shown]
	v_fmamk_f32 v0, v77, 0xbf3504f3, v76
	v_fmamk_f32 v1, v46, 0xbec3ef15, v65
	v_fmamk_f32 v17, v32, 0x3ec3ef15, v72
	v_fma_f32 v24, v38, 2.0, -v57
	v_fmamk_f32 v25, v45, 0xbf6c835e, v23
	v_fmac_f32_e32 v14, 0x3f3504f3, v75
	v_fmac_f32_e32 v15, 0x3ec3ef15, v21
	v_add_f32_e32 v16, v29, v68
	v_fmac_f32_e32 v0, 0x3f3504f3, v78
	v_fmac_f32_e32 v1, 0x3f6c835e, v59
	;; [unrolled: 1-line block ×3, first 2 shown]
	v_sub_f32_e32 v24, v22, v24
	v_fmac_f32_e32 v25, 0x3ec3ef15, v61
	v_fma_f32 v27, v73, 2.0, -v14
	v_fma_f32 v28, v71, 2.0, -v15
	;; [unrolled: 1-line block ×8, first 2 shown]
	ds_write2_b32 v35, v14, v15 offset0:140 offset1:150
	ds_write2_b32 v35, v27, v28 offset0:60 offset1:70
	;; [unrolled: 1-line block ×7, first 2 shown]
	ds_write2_b32 v35, v22, v23 offset1:10
	s_waitcnt lgkmcnt(0)
	s_barrier
	buffer_gl0_inv
	ds_read2_b32 v[26:27], v34 offset0:32 offset1:192
	ds_read2_b32 v[22:23], v36 offset0:32 offset1:192
	;; [unrolled: 1-line block ×4, first 2 shown]
	ds_read_b32 v38, v43
	ds_read_b32 v40, v41 offset:5760
	v_mul_f32_e32 v19, 0x3f3504f3, v69
	v_mul_f32_e32 v71, 0x3f3504f3, v70
	;; [unrolled: 1-line block ×8, first 2 shown]
	s_and_saveexec_b32 s1, s0
	s_cbranch_execz .LBB0_19
; %bb.18:
	v_add_nc_u32_e32 v0, 0x100, v41
	v_add_nc_u32_e32 v6, 0x600, v41
	;; [unrolled: 1-line block ×5, first 2 shown]
	ds_read2_b32 v[0:1], v0 offset0:36 offset1:196
	ds_read2_b32 v[16:17], v6 offset0:36 offset1:196
	;; [unrolled: 1-line block ×5, first 2 shown]
.LBB0_19:
	s_or_b32 exec_lo, exec_lo, s1
	v_mul_f32_e32 v3, v30, v3
	v_fma_f32 v30, v62, 2.0, -v63
	v_add_nc_u32_e32 v62, 0xc00, v41
	s_waitcnt lgkmcnt(0)
	s_barrier
	v_fma_f32 v2, v18, v2, -v3
	v_fma_f32 v3, v37, 2.0, -v60
	v_fma_f32 v37, v64, 2.0, -v68
	buffer_gl0_inv
	v_sub_f32_e32 v2, v20, v2
	v_fma_f32 v18, v20, 2.0, -v2
	v_sub_f32_e32 v20, v2, v58
	v_sub_f32_e32 v3, v18, v3
	v_fma_f32 v2, v2, 2.0, -v20
	v_add_f32_e32 v58, v20, v72
	v_sub_f32_e32 v44, v3, v44
	v_sub_f32_e32 v60, v2, v71
	;; [unrolled: 1-line block ×3, first 2 shown]
	v_fma_f32 v18, v18, 2.0, -v3
	v_fma_f32 v63, v3, 2.0, -v44
	v_sub_f32_e32 v60, v60, v19
	v_fma_f32 v64, v20, 2.0, -v58
	v_sub_f32_e32 v30, v18, v30
	v_add_f32_e32 v68, v44, v69
	v_fmamk_f32 v19, v21, 0x3f6c835e, v58
	v_fma_f32 v70, v2, 2.0, -v60
	v_sub_f32_e32 v2, v63, v67
	v_fmamk_f32 v3, v59, 0xbec3ef15, v64
	v_fmamk_f32 v21, v33, 0x3ec3ef15, v60
	v_fma_f32 v69, v18, 2.0, -v30
	v_sub_f32_e32 v18, v68, v66
	v_fmac_f32_e32 v19, 0xbec3ef15, v31
	v_fmamk_f32 v33, v61, 0xbf6c835e, v70
	v_sub_f32_e32 v2, v2, v65
	v_fmac_f32_e32 v3, 0xbf6c835e, v46
	v_sub_f32_e32 v20, v30, v57
	v_fmac_f32_e32 v21, 0xbf6c835e, v32
	v_sub_f32_e32 v31, v69, v37
	v_fma_f32 v32, v44, 2.0, -v18
	v_fma_f32 v37, v58, 2.0, -v19
	v_fmac_f32_e32 v33, 0xbec3ef15, v45
	v_fma_f32 v45, v63, 2.0, -v2
	v_fma_f32 v46, v64, 2.0, -v3
	;; [unrolled: 1-line block ×4, first 2 shown]
	ds_write2_b32 v35, v18, v19 offset0:140 offset1:150
	v_fma_f32 v44, v69, 2.0, -v31
	ds_write2_b32 v35, v32, v37 offset0:60 offset1:70
	ds_write2_b32 v35, v2, v3 offset0:100 offset1:110
	v_fma_f32 v32, v70, 2.0, -v33
	ds_write2_b32 v35, v20, v21 offset0:120 offset1:130
	ds_write2_b32 v35, v45, v46 offset0:20 offset1:30
	;; [unrolled: 1-line block ×4, first 2 shown]
	ds_write2_b32 v35, v44, v32 offset1:10
	s_waitcnt lgkmcnt(0)
	s_barrier
	buffer_gl0_inv
	ds_read2_b32 v[30:31], v34 offset0:32 offset1:192
	ds_read2_b32 v[36:37], v36 offset0:32 offset1:192
	;; [unrolled: 1-line block ×4, first 2 shown]
	ds_read_b32 v42, v43
	ds_read_b32 v43, v41 offset:5760
	s_and_saveexec_b32 s1, s0
	s_cbranch_execz .LBB0_21
; %bb.20:
	v_add_nc_u32_e32 v2, 0x100, v41
	v_add_nc_u32_e32 v10, 0x600, v41
	;; [unrolled: 1-line block ×5, first 2 shown]
	ds_read2_b32 v[2:3], v2 offset0:36 offset1:196
	ds_read2_b32 v[20:21], v10 offset0:36 offset1:196
	;; [unrolled: 1-line block ×5, first 2 shown]
.LBB0_21:
	s_or_b32 exec_lo, exec_lo, s1
	s_and_saveexec_b32 s1, vcc_lo
	s_cbranch_execz .LBB0_24
; %bb.22:
	v_mul_u32_u24_e32 v41, 9, v47
	v_mad_u64_u32 v[73:74], null, s2, v47, 0
	v_mad_u64_u32 v[75:76], null, s2, v48, 0
	v_lshlrev_b32_e32 v41, 3, v41
	v_mad_u64_u32 v[77:78], null, s2, v49, 0
	v_mad_u64_u32 v[79:80], null, s2, v50, 0
	s_clause 0x4
	global_load_dwordx4 v[57:60], v41, s[8:9] offset:1200
	global_load_dwordx4 v[61:64], v41, s[8:9] offset:1216
	;; [unrolled: 1-line block ×4, first 2 shown]
	global_load_dwordx2 v[44:45], v41, s[8:9] offset:1264
	v_mad_u64_u32 v[81:82], null, s2, v51, 0
	v_mad_u64_u32 v[85:86], null, s2, v52, 0
	;; [unrolled: 1-line block ×6, first 2 shown]
	v_mov_b32_e32 v41, v74
	v_mov_b32_e32 v46, v76
	;; [unrolled: 1-line block ×10, first 2 shown]
	v_mad_u64_u32 v[92:93], null, s3, v48, v[46:47]
	v_mad_u64_u32 v[48:49], null, s3, v49, v[74:75]
	;; [unrolled: 1-line block ×7, first 2 shown]
	s_waitcnt lgkmcnt(1)
	v_mad_u64_u32 v[94:95], null, s3, v47, v[41:42]
	v_mad_u64_u32 v[53:54], null, s3, v55, v[86:87]
	;; [unrolled: 1-line block ×3, first 2 shown]
	v_mov_b32_e32 v78, v48
	v_mov_b32_e32 v80, v49
	;; [unrolled: 1-line block ×9, first 2 shown]
	v_lshlrev_b64 v[48:49], 3, v[73:74]
	v_lshlrev_b64 v[52:53], 3, v[77:78]
	;; [unrolled: 1-line block ×7, first 2 shown]
	v_mov_b32_e32 v84, v93
	v_add_co_u32 v4, vcc_lo, s12, v4
	v_add_co_ci_u32_e32 v5, vcc_lo, s13, v5, vcc_lo
	v_lshlrev_b64 v[50:51], 3, v[75:76]
	v_lshlrev_b64 v[75:76], 3, v[83:84]
	;; [unrolled: 1-line block ×3, first 2 shown]
	v_add_co_u32 v48, vcc_lo, v4, v48
	v_add_co_ci_u32_e32 v49, vcc_lo, v5, v49, vcc_lo
	v_add_co_u32 v50, vcc_lo, v4, v50
	v_add_co_ci_u32_e32 v51, vcc_lo, v5, v51, vcc_lo
	;; [unrolled: 2-line block ×10, first 2 shown]
	s_waitcnt vmcnt(4)
	v_mul_f32_e32 v41, v27, v60
	s_waitcnt vmcnt(3)
	v_mul_f32_e32 v46, v23, v64
	;; [unrolled: 2-line block ×4, first 2 shown]
	v_mul_f32_e32 v72, v33, v72
	v_mul_f32_e32 v86, v22, v61
	;; [unrolled: 1-line block ×3, first 2 shown]
	s_waitcnt vmcnt(0)
	v_mul_f32_e32 v88, v40, v44
	v_mul_f32_e32 v89, v28, v65
	;; [unrolled: 1-line block ×11, first 2 shown]
	v_fma_f32 v31, v31, v59, -v41
	v_fma_f32 v37, v37, v63, -v46
	;; [unrolled: 1-line block ×4, first 2 shown]
	v_fmac_f32_e32 v72, v25, v71
	v_fmac_f32_e32 v86, v36, v62
	;; [unrolled: 1-line block ×3, first 2 shown]
	s_waitcnt lgkmcnt(0)
	v_fmac_f32_e32 v88, v43, v45
	v_fmac_f32_e32 v89, v34, v66
	v_fma_f32 v24, v32, v69, -v24
	v_fma_f32 v25, v34, v65, -v28
	v_fmac_f32_e32 v64, v23, v63
	v_fma_f32 v22, v36, v61, -v22
	v_fma_f32 v23, v43, v44, -v40
	v_fmac_f32_e32 v60, v27, v59
	v_fmac_f32_e32 v68, v29, v67
	v_fma_f32 v26, v30, v57, -v26
	v_sub_f32_e32 v27, v31, v37
	v_sub_f32_e32 v28, v35, v33
	;; [unrolled: 1-line block ×4, first 2 shown]
	v_add_f32_e32 v46, v24, v25
	v_add_f32_e32 v69, v22, v23
	v_fmac_f32_e32 v90, v30, v58
	v_add_f32_e32 v29, v37, v33
	v_sub_f32_e32 v30, v60, v68
	v_add_f32_e32 v40, v87, v89
	v_sub_f32_e32 v56, v86, v88
	;; [unrolled: 2-line block ×3, first 2 shown]
	v_sub_f32_e32 v93, v64, v60
	v_add_f32_e32 v95, v60, v68
	v_add_f32_e32 v60, v38, v60
	;; [unrolled: 1-line block ×4, first 2 shown]
	v_fma_f32 v36, -0.5, v46, v26
	v_sub_f32_e32 v41, v22, v23
	v_sub_f32_e32 v44, v22, v24
	;; [unrolled: 1-line block ×4, first 2 shown]
	v_add_f32_e32 v65, v86, v88
	v_sub_f32_e32 v66, v24, v22
	v_sub_f32_e32 v67, v25, v23
	v_add_f32_e32 v22, v22, v26
	v_fma_f32 v26, -0.5, v69, v26
	v_add_f32_e32 v70, v42, v31
	v_sub_f32_e32 v32, v64, v72
	v_sub_f32_e32 v58, v37, v31
	;; [unrolled: 1-line block ×5, first 2 shown]
	v_add_f32_e32 v91, v64, v72
	v_fma_f32 v96, -0.5, v29, v42
	v_fma_f32 v29, -0.5, v40, v90
	;; [unrolled: 1-line block ×3, first 2 shown]
	v_add_f32_e32 v60, v60, v64
	v_fmamk_f32 v64, v56, 0xbf737871, v36
	v_fmac_f32_e32 v36, 0x3f737871, v56
	v_sub_f32_e32 v43, v24, v25
	v_add_f32_e32 v34, v44, v45
	v_fma_f32 v45, -0.5, v65, v90
	v_add_f32_e32 v46, v66, v67
	v_fmamk_f32 v67, v57, 0x3f737871, v26
	v_fmac_f32_e32 v26, 0xbf737871, v57
	v_sub_f32_e32 v92, v37, v33
	v_add_f32_e32 v37, v70, v37
	v_add_f32_e32 v22, v24, v22
	v_sub_f32_e32 v31, v31, v35
	v_add_f32_e32 v86, v86, v90
	v_add_f32_e32 v40, v58, v59
	;; [unrolled: 1-line block ×3, first 2 shown]
	v_fma_f32 v58, -0.5, v91, v38
	v_fmamk_f32 v63, v41, 0x3f737871, v29
	v_fmamk_f32 v65, v32, 0x3f737871, v42
	v_fmac_f32_e32 v42, 0xbf737871, v32
	v_fmac_f32_e32 v29, 0xbf737871, v41
	;; [unrolled: 1-line block ×3, first 2 shown]
	v_fma_f32 v38, -0.5, v95, v38
	v_fmamk_f32 v66, v43, 0xbf737871, v45
	v_fmac_f32_e32 v45, 0x3f737871, v43
	v_fmac_f32_e32 v26, 0x3f167918, v56
	v_fmamk_f32 v62, v30, 0xbf737871, v96
	v_fmac_f32_e32 v96, 0x3f737871, v30
	v_add_f32_e32 v33, v37, v33
	v_add_f32_e32 v22, v25, v22
	v_fmac_f32_e32 v67, 0xbf167918, v56
	v_fmac_f32_e32 v64, 0xbf167918, v57
	v_sub_f32_e32 v85, v68, v72
	v_add_f32_e32 v61, v87, v86
	v_fmamk_f32 v69, v31, 0x3f737871, v58
	v_fmac_f32_e32 v58, 0xbf737871, v31
	v_fmac_f32_e32 v65, 0xbf167918, v30
	;; [unrolled: 1-line block ×5, first 2 shown]
	v_sub_f32_e32 v94, v72, v68
	v_fmamk_f32 v70, v92, 0xbf737871, v38
	v_fmac_f32_e32 v38, 0x3f737871, v92
	v_fmac_f32_e32 v45, 0xbf167918, v41
	v_fmac_f32_e32 v26, 0x3e9e377a, v46
	v_add_f32_e32 v25, v60, v72
	v_fmac_f32_e32 v62, 0xbf167918, v32
	v_fmac_f32_e32 v66, 0x3f167918, v41
	;; [unrolled: 1-line block ×3, first 2 shown]
	v_add_f32_e32 v30, v35, v33
	v_add_f32_e32 v32, v23, v22
	v_fmac_f32_e32 v67, 0x3e9e377a, v46
	v_fmac_f32_e32 v63, 0x3f167918, v43
	;; [unrolled: 1-line block ×3, first 2 shown]
	v_add_f32_e32 v24, v71, v85
	v_add_f32_e32 v37, v89, v61
	v_fmac_f32_e32 v58, 0xbf167918, v92
	v_fmac_f32_e32 v65, 0x3e9e377a, v40
	;; [unrolled: 1-line block ×4, first 2 shown]
	v_mul_f32_e32 v40, 0x3f4f1bbd, v36
	v_mul_f32_e32 v56, 0xbf167918, v36
	v_add_f32_e32 v59, v93, v94
	v_fmac_f32_e32 v38, 0xbf167918, v31
	v_fmac_f32_e32 v45, 0x3e9e377a, v44
	v_mul_f32_e32 v34, 0x3e9e377a, v26
	v_mul_f32_e32 v46, 0xbf737871, v26
	v_fmac_f32_e32 v70, 0x3f167918, v31
	v_add_f32_e32 v31, v68, v25
	v_fmac_f32_e32 v66, 0x3e9e377a, v44
	v_sub_f32_e32 v23, v30, v32
	v_add_f32_e32 v25, v30, v32
	v_mul_f32_e32 v32, 0xbe9e377a, v67
	v_mul_f32_e32 v44, 0xbf737871, v67
	v_fmac_f32_e32 v69, 0x3f167918, v92
	v_fmac_f32_e32 v63, 0x3e9e377a, v28
	v_mul_f32_e32 v30, 0xbf4f1bbd, v64
	v_mul_f32_e32 v43, 0xbf167918, v64
	v_add_f32_e32 v33, v88, v37
	v_fmac_f32_e32 v96, 0x3e9e377a, v27
	v_fmac_f32_e32 v58, 0x3e9e377a, v24
	;; [unrolled: 1-line block ×14, first 2 shown]
	v_sub_f32_e32 v22, v31, v33
	v_add_f32_e32 v24, v31, v33
	v_sub_f32_e32 v31, v96, v40
	v_add_f32_e32 v41, v96, v40
	v_add_f32_e32 v40, v58, v56
	;; [unrolled: 1-line block ×4, first 2 shown]
	v_sub_f32_e32 v29, v42, v34
	v_add_f32_e32 v35, v65, v32
	v_add_f32_e32 v34, v70, v44
	v_sub_f32_e32 v27, v65, v32
	v_add_f32_e32 v33, v62, v30
	v_add_f32_e32 v32, v69, v43
	global_store_dwordx2 v[48:49], v[24:25], off
	v_sub_f32_e32 v25, v62, v30
	v_sub_f32_e32 v24, v69, v43
	;; [unrolled: 1-line block ×5, first 2 shown]
	global_store_dwordx2 v[50:51], v[40:41], off
	global_store_dwordx2 v[52:53], v[36:37], off
	;; [unrolled: 1-line block ×9, first 2 shown]
	s_and_b32 exec_lo, exec_lo, s0
	s_cbranch_execz .LBB0_24
; %bb.23:
	v_subrev_nc_u32_e32 v22, 60, v47
	v_mov_b32_e32 v23, 0
	v_mad_u64_u32 v[42:43], null, s2, v39, 0
	v_add_nc_u32_e32 v62, 0x104, v47
	v_cndmask_b32_e64 v22, v22, v39, s0
	v_add_nc_u32_e32 v63, 0x1a4, v47
	v_add_nc_u32_e32 v64, 0x244, v47
	;; [unrolled: 1-line block ×4, first 2 shown]
	v_mul_i32_i24_e32 v22, 9, v22
	v_add_nc_u32_e32 v67, 0x424, v47
	v_add_nc_u32_e32 v68, 0x4c4, v47
	v_add_nc_u32_e32 v69, 0x564, v47
	v_add_nc_u32_e32 v70, 0x604, v47
	v_lshlrev_b64 v[22:23], 3, v[22:23]
	v_mad_u64_u32 v[44:45], null, s2, v62, 0
	v_mov_b32_e32 v38, v43
	v_mad_u64_u32 v[46:47], null, s2, v63, 0
	v_add_co_u32 v40, vcc_lo, s8, v22
	v_add_co_ci_u32_e32 v41, vcc_lo, s9, v23, vcc_lo
	v_mad_u64_u32 v[48:49], null, s2, v64, 0
	v_mad_u64_u32 v[50:51], null, s2, v65, 0
	s_clause 0x4
	global_load_dwordx4 v[22:25], v[40:41], off offset:1200
	global_load_dwordx4 v[26:29], v[40:41], off offset:1216
	;; [unrolled: 1-line block ×4, first 2 shown]
	global_load_dwordx2 v[40:41], v[40:41], off offset:1264
	v_mad_u64_u32 v[52:53], null, s2, v66, 0
	v_mad_u64_u32 v[54:55], null, s2, v67, 0
	;; [unrolled: 1-line block ×6, first 2 shown]
	v_mov_b32_e32 v39, v45
	v_mov_b32_e32 v43, v47
	;; [unrolled: 1-line block ×9, first 2 shown]
	s_waitcnt vmcnt(0)
	v_mad_u64_u32 v[61:62], null, s3, v62, v[39:40]
	v_mad_u64_u32 v[62:63], null, s3, v63, v[43:44]
	v_mov_b32_e32 v43, v38
	v_mad_u64_u32 v[38:39], null, s3, v69, v[55:56]
	v_mad_u64_u32 v[63:64], null, s3, v64, v[45:46]
	v_mov_b32_e32 v45, v61
	v_mad_u64_u32 v[64:65], null, s3, v65, v[47:48]
	v_lshlrev_b64 v[42:43], 3, v[42:43]
	v_mov_b32_e32 v47, v62
	v_mad_u64_u32 v[65:66], null, s3, v66, v[49:50]
	v_mov_b32_e32 v59, v38
	v_lshlrev_b64 v[38:39], 3, v[44:45]
	v_mov_b32_e32 v49, v63
	v_mad_u64_u32 v[66:67], null, s3, v67, v[51:52]
	v_lshlrev_b64 v[44:45], 3, v[46:47]
	v_add_co_u32 v42, vcc_lo, v4, v42
	v_mov_b32_e32 v51, v64
	v_mad_u64_u32 v[67:68], null, s3, v68, v[53:54]
	v_add_co_ci_u32_e32 v43, vcc_lo, v5, v43, vcc_lo
	v_lshlrev_b64 v[46:47], 3, v[48:49]
	v_add_co_u32 v38, vcc_lo, v4, v38
	v_mov_b32_e32 v53, v65
	v_add_co_ci_u32_e32 v39, vcc_lo, v5, v39, vcc_lo
	v_lshlrev_b64 v[48:49], 3, v[50:51]
	v_add_co_u32 v44, vcc_lo, v4, v44
	v_mov_b32_e32 v55, v66
	v_mad_u64_u32 v[68:69], null, s3, v70, v[57:58]
	v_add_co_ci_u32_e32 v45, vcc_lo, v5, v45, vcc_lo
	v_lshlrev_b64 v[50:51], 3, v[52:53]
	v_add_co_u32 v46, vcc_lo, v4, v46
	v_mov_b32_e32 v57, v67
	v_add_co_ci_u32_e32 v47, vcc_lo, v5, v47, vcc_lo
	v_lshlrev_b64 v[52:53], 3, v[54:55]
	v_add_co_u32 v48, vcc_lo, v4, v48
	v_add_co_ci_u32_e32 v49, vcc_lo, v5, v49, vcc_lo
	v_lshlrev_b64 v[54:55], 3, v[56:57]
	v_add_co_u32 v50, vcc_lo, v4, v50
	v_mov_b32_e32 v61, v68
	v_add_co_ci_u32_e32 v51, vcc_lo, v5, v51, vcc_lo
	v_lshlrev_b64 v[56:57], 3, v[58:59]
	v_add_co_u32 v52, vcc_lo, v4, v52
	v_add_co_ci_u32_e32 v53, vcc_lo, v5, v53, vcc_lo
	v_lshlrev_b64 v[58:59], 3, v[60:61]
	v_add_co_u32 v54, vcc_lo, v4, v54
	v_add_co_ci_u32_e32 v55, vcc_lo, v5, v55, vcc_lo
	v_add_co_u32 v56, vcc_lo, v4, v56
	v_add_co_ci_u32_e32 v57, vcc_lo, v5, v57, vcc_lo
	;; [unrolled: 2-line block ×3, first 2 shown]
	v_mul_f32_e32 v58, v3, v23
	v_mul_f32_e32 v23, v1, v23
	;; [unrolled: 1-line block ×18, first 2 shown]
	v_fmac_f32_e32 v58, v1, v22
	v_fma_f32 v1, v3, v22, -v23
	v_fmac_f32_e32 v59, v16, v24
	v_fma_f32 v3, v20, v24, -v25
	v_fma_f32 v16, v21, v26, -v27
	v_fmac_f32_e32 v61, v14, v28
	v_fma_f32 v14, v18, v28, -v29
	v_fmac_f32_e32 v62, v15, v30
	;; [unrolled: 2-line block ×7, first 2 shown]
	v_add_f32_e32 v10, v0, v59
	v_add_f32_e32 v11, v61, v63
	v_sub_f32_e32 v17, v59, v61
	v_sub_f32_e32 v18, v65, v63
	v_add_f32_e32 v19, v59, v65
	v_sub_f32_e32 v20, v61, v59
	v_sub_f32_e32 v24, v59, v65
	;; [unrolled: 1-line block ×4, first 2 shown]
	v_add_f32_e32 v41, v1, v16
	v_add_f32_e32 v59, v15, v9
	;; [unrolled: 1-line block ×3, first 2 shown]
	v_sub_f32_e32 v21, v63, v65
	v_add_f32_e32 v22, v2, v3
	v_add_f32_e32 v23, v14, v8
	v_sub_f32_e32 v25, v61, v63
	v_add_f32_e32 v28, v3, v6
	v_add_f32_e32 v30, v58, v60
	;; [unrolled: 1-line block ×3, first 2 shown]
	v_sub_f32_e32 v32, v16, v7
	v_sub_f32_e32 v33, v15, v9
	;; [unrolled: 1-line block ×3, first 2 shown]
	v_add_f32_e32 v36, v60, v66
	v_sub_f32_e32 v37, v62, v60
	v_sub_f32_e32 v60, v60, v66
	;; [unrolled: 1-line block ×4, first 2 shown]
	v_add_f32_e32 v10, v10, v61
	v_fma_f32 v61, -0.5, v11, v0
	v_add_f32_e32 v11, v17, v18
	v_add_f32_e32 v18, v26, v27
	;; [unrolled: 1-line block ×3, first 2 shown]
	v_fma_f32 v26, -0.5, v59, v1
	v_sub_f32_e32 v35, v66, v64
	v_sub_f32_e32 v67, v62, v64
	v_fmac_f32_e32 v1, -0.5, v70
	v_sub_f32_e32 v12, v3, v6
	v_sub_f32_e32 v13, v14, v8
	;; [unrolled: 1-line block ×5, first 2 shown]
	v_fmac_f32_e32 v0, -0.5, v19
	v_add_f32_e32 v17, v20, v21
	v_add_f32_e32 v14, v22, v14
	v_fma_f32 v21, -0.5, v23, v2
	v_fmac_f32_e32 v2, -0.5, v28
	v_add_f32_e32 v19, v30, v62
	v_fma_f32 v20, -0.5, v31, v58
	v_add_f32_e32 v9, v15, v9
	v_fmamk_f32 v15, v60, 0x3f737871, v26
	v_sub_f32_e32 v29, v8, v6
	v_add_f32_e32 v22, v34, v35
	v_fmac_f32_e32 v58, -0.5, v36
	v_fmamk_f32 v35, v67, 0xbf737871, v1
	v_fmac_f32_e32 v1, 0x3f737871, v67
	v_fmac_f32_e32 v26, 0xbf737871, v60
	v_add_f32_e32 v27, v68, v69
	v_add_f32_e32 v8, v14, v8
	v_fmamk_f32 v31, v25, 0xbf737871, v2
	v_fmac_f32_e32 v2, 0x3f737871, v25
	v_add_f32_e32 v14, v19, v64
	v_fmamk_f32 v19, v32, 0xbf737871, v20
	v_fmac_f32_e32 v15, 0x3f167918, v67
	v_sub_f32_e32 v40, v64, v66
	v_add_f32_e32 v3, v3, v29
	v_add_f32_e32 v16, v16, v71
	v_fmamk_f32 v29, v13, 0x3f737871, v0
	v_fmac_f32_e32 v0, 0xbf737871, v13
	v_fmamk_f32 v34, v33, 0x3f737871, v58
	v_fmac_f32_e32 v35, 0x3f167918, v60
	v_fmac_f32_e32 v20, 0x3f737871, v32
	;; [unrolled: 1-line block ×5, first 2 shown]
	v_add_f32_e32 v10, v10, v63
	v_fmamk_f32 v28, v12, 0xbf737871, v61
	v_fmamk_f32 v30, v24, 0x3f737871, v21
	v_fmac_f32_e32 v31, 0x3f167918, v24
	v_fmac_f32_e32 v2, 0xbf167918, v24
	v_fmac_f32_e32 v19, 0xbf167918, v33
	v_fmac_f32_e32 v15, 0x3e9e377a, v27
	v_add_f32_e32 v23, v37, v40
	v_fmac_f32_e32 v21, 0xbf737871, v24
	v_fmac_f32_e32 v29, 0xbf167918, v12
	;; [unrolled: 1-line block ×10, first 2 shown]
	v_add_f32_e32 v10, v10, v65
	v_fmac_f32_e32 v28, 0xbf167918, v13
	v_add_f32_e32 v12, v8, v6
	v_fmac_f32_e32 v30, 0x3f167918, v25
	v_add_f32_e32 v8, v14, v66
	v_add_f32_e32 v9, v9, v7
	v_fmac_f32_e32 v31, 0x3e9e377a, v3
	v_fmac_f32_e32 v2, 0x3e9e377a, v3
	;; [unrolled: 1-line block ×3, first 2 shown]
	v_mul_f32_e32 v3, 0xbf167918, v15
	v_mul_f32_e32 v24, 0x3f4f1bbd, v15
	v_fmac_f32_e32 v21, 0xbf167918, v25
	v_fmac_f32_e32 v29, 0x3e9e377a, v17
	;; [unrolled: 1-line block ×4, first 2 shown]
	v_mul_f32_e32 v17, 0xbf737871, v35
	v_mul_f32_e32 v25, 0x3e9e377a, v35
	v_fmac_f32_e32 v20, 0x3e9e377a, v22
	v_fmac_f32_e32 v58, 0x3e9e377a, v23
	v_mul_f32_e32 v22, 0xbf737871, v1
	v_mul_f32_e32 v1, 0xbe9e377a, v1
	v_fmac_f32_e32 v61, 0x3f167918, v13
	v_mul_f32_e32 v23, 0xbf167918, v26
	v_mul_f32_e32 v26, 0xbf4f1bbd, v26
	v_fmac_f32_e32 v28, 0x3e9e377a, v11
	v_fmac_f32_e32 v30, 0x3e9e377a, v18
	v_add_f32_e32 v6, v10, v8
	v_add_f32_e32 v7, v12, v9
	v_fmac_f32_e32 v3, 0x3f4f1bbd, v19
	v_fmac_f32_e32 v24, 0x3f167918, v19
	;; [unrolled: 1-line block ×10, first 2 shown]
	global_store_dwordx2 v[42:43], v[6:7], off
	v_add_f32_e32 v6, v28, v3
	v_add_f32_e32 v7, v30, v24
	v_sub_f32_e32 v8, v10, v8
	v_add_f32_e32 v10, v29, v17
	v_add_f32_e32 v11, v31, v25
	v_sub_f32_e32 v9, v12, v9
	v_add_f32_e32 v12, v0, v22
	v_add_f32_e32 v13, v2, v1
	;; [unrolled: 1-line block ×4, first 2 shown]
	v_sub_f32_e32 v16, v28, v3
	v_sub_f32_e32 v18, v29, v17
	;; [unrolled: 1-line block ×8, first 2 shown]
	global_store_dwordx2 v[38:39], v[6:7], off
	global_store_dwordx2 v[44:45], v[10:11], off
	;; [unrolled: 1-line block ×9, first 2 shown]
.LBB0_24:
	s_endpgm
	.section	.rodata,"a",@progbits
	.p2align	6, 0x0
	.amdhsa_kernel fft_rtc_back_len1600_factors_10_16_10_wgs_200_tpt_100_halfLds_sp_ip_CI_sbrr_dirReg
		.amdhsa_group_segment_fixed_size 0
		.amdhsa_private_segment_fixed_size 0
		.amdhsa_kernarg_size 88
		.amdhsa_user_sgpr_count 6
		.amdhsa_user_sgpr_private_segment_buffer 1
		.amdhsa_user_sgpr_dispatch_ptr 0
		.amdhsa_user_sgpr_queue_ptr 0
		.amdhsa_user_sgpr_kernarg_segment_ptr 1
		.amdhsa_user_sgpr_dispatch_id 0
		.amdhsa_user_sgpr_flat_scratch_init 0
		.amdhsa_user_sgpr_private_segment_size 0
		.amdhsa_wavefront_size32 1
		.amdhsa_uses_dynamic_stack 0
		.amdhsa_system_sgpr_private_segment_wavefront_offset 0
		.amdhsa_system_sgpr_workgroup_id_x 1
		.amdhsa_system_sgpr_workgroup_id_y 0
		.amdhsa_system_sgpr_workgroup_id_z 0
		.amdhsa_system_sgpr_workgroup_info 0
		.amdhsa_system_vgpr_workitem_id 0
		.amdhsa_next_free_vgpr 105
		.amdhsa_next_free_sgpr 23
		.amdhsa_reserve_vcc 1
		.amdhsa_reserve_flat_scratch 0
		.amdhsa_float_round_mode_32 0
		.amdhsa_float_round_mode_16_64 0
		.amdhsa_float_denorm_mode_32 3
		.amdhsa_float_denorm_mode_16_64 3
		.amdhsa_dx10_clamp 1
		.amdhsa_ieee_mode 1
		.amdhsa_fp16_overflow 0
		.amdhsa_workgroup_processor_mode 1
		.amdhsa_memory_ordered 1
		.amdhsa_forward_progress 0
		.amdhsa_shared_vgpr_count 0
		.amdhsa_exception_fp_ieee_invalid_op 0
		.amdhsa_exception_fp_denorm_src 0
		.amdhsa_exception_fp_ieee_div_zero 0
		.amdhsa_exception_fp_ieee_overflow 0
		.amdhsa_exception_fp_ieee_underflow 0
		.amdhsa_exception_fp_ieee_inexact 0
		.amdhsa_exception_int_div_zero 0
	.end_amdhsa_kernel
	.text
.Lfunc_end0:
	.size	fft_rtc_back_len1600_factors_10_16_10_wgs_200_tpt_100_halfLds_sp_ip_CI_sbrr_dirReg, .Lfunc_end0-fft_rtc_back_len1600_factors_10_16_10_wgs_200_tpt_100_halfLds_sp_ip_CI_sbrr_dirReg
                                        ; -- End function
	.section	.AMDGPU.csdata,"",@progbits
; Kernel info:
; codeLenInByte = 10140
; NumSgprs: 25
; NumVgprs: 105
; ScratchSize: 0
; MemoryBound: 0
; FloatMode: 240
; IeeeMode: 1
; LDSByteSize: 0 bytes/workgroup (compile time only)
; SGPRBlocks: 3
; VGPRBlocks: 13
; NumSGPRsForWavesPerEU: 25
; NumVGPRsForWavesPerEU: 105
; Occupancy: 9
; WaveLimiterHint : 1
; COMPUTE_PGM_RSRC2:SCRATCH_EN: 0
; COMPUTE_PGM_RSRC2:USER_SGPR: 6
; COMPUTE_PGM_RSRC2:TRAP_HANDLER: 0
; COMPUTE_PGM_RSRC2:TGID_X_EN: 1
; COMPUTE_PGM_RSRC2:TGID_Y_EN: 0
; COMPUTE_PGM_RSRC2:TGID_Z_EN: 0
; COMPUTE_PGM_RSRC2:TIDIG_COMP_CNT: 0
	.text
	.p2alignl 6, 3214868480
	.fill 48, 4, 3214868480
	.type	__hip_cuid_ae99f89a0f6190c3,@object ; @__hip_cuid_ae99f89a0f6190c3
	.section	.bss,"aw",@nobits
	.globl	__hip_cuid_ae99f89a0f6190c3
__hip_cuid_ae99f89a0f6190c3:
	.byte	0                               ; 0x0
	.size	__hip_cuid_ae99f89a0f6190c3, 1

	.ident	"AMD clang version 19.0.0git (https://github.com/RadeonOpenCompute/llvm-project roc-6.4.0 25133 c7fe45cf4b819c5991fe208aaa96edf142730f1d)"
	.section	".note.GNU-stack","",@progbits
	.addrsig
	.addrsig_sym __hip_cuid_ae99f89a0f6190c3
	.amdgpu_metadata
---
amdhsa.kernels:
  - .args:
      - .actual_access:  read_only
        .address_space:  global
        .offset:         0
        .size:           8
        .value_kind:     global_buffer
      - .offset:         8
        .size:           8
        .value_kind:     by_value
      - .actual_access:  read_only
        .address_space:  global
        .offset:         16
        .size:           8
        .value_kind:     global_buffer
      - .actual_access:  read_only
        .address_space:  global
        .offset:         24
        .size:           8
        .value_kind:     global_buffer
      - .offset:         32
        .size:           8
        .value_kind:     by_value
      - .actual_access:  read_only
        .address_space:  global
        .offset:         40
        .size:           8
        .value_kind:     global_buffer
      - .actual_access:  read_only
        .address_space:  global
        .offset:         48
        .size:           8
        .value_kind:     global_buffer
      - .offset:         56
        .size:           4
        .value_kind:     by_value
      - .actual_access:  read_only
        .address_space:  global
        .offset:         64
        .size:           8
        .value_kind:     global_buffer
      - .actual_access:  read_only
        .address_space:  global
        .offset:         72
        .size:           8
        .value_kind:     global_buffer
      - .address_space:  global
        .offset:         80
        .size:           8
        .value_kind:     global_buffer
    .group_segment_fixed_size: 0
    .kernarg_segment_align: 8
    .kernarg_segment_size: 88
    .language:       OpenCL C
    .language_version:
      - 2
      - 0
    .max_flat_workgroup_size: 200
    .name:           fft_rtc_back_len1600_factors_10_16_10_wgs_200_tpt_100_halfLds_sp_ip_CI_sbrr_dirReg
    .private_segment_fixed_size: 0
    .sgpr_count:     25
    .sgpr_spill_count: 0
    .symbol:         fft_rtc_back_len1600_factors_10_16_10_wgs_200_tpt_100_halfLds_sp_ip_CI_sbrr_dirReg.kd
    .uniform_work_group_size: 1
    .uses_dynamic_stack: false
    .vgpr_count:     105
    .vgpr_spill_count: 0
    .wavefront_size: 32
    .workgroup_processor_mode: 1
amdhsa.target:   amdgcn-amd-amdhsa--gfx1030
amdhsa.version:
  - 1
  - 2
...

	.end_amdgpu_metadata
